;; amdgpu-corpus repo=zjin-lcf/HeCBench kind=compiled arch=gfx1100 opt=O3
	.text
	.amdgcn_target "amdgcn-amd-amdhsa--gfx1100"
	.amdhsa_code_object_version 6
	.protected	_Z6affinePKtPt          ; -- Begin function _Z6affinePKtPt
	.globl	_Z6affinePKtPt
	.p2align	8
	.type	_Z6affinePKtPt,@function
_Z6affinePKtPt:                         ; @_Z6affinePKtPt
; %bb.0:
	s_clause 0x1
	s_load_b32 s2, s[0:1], 0x1c
	s_load_b64 s[4:5], s[0:1], 0x0
	v_and_b32_e32 v2, 0x3ff, v0
	v_bfe_u32 v3, v0, 10, 10
	s_mov_b32 s6, 0
	s_waitcnt lgkmcnt(0)
	s_and_b32 s3, s2, 0xffff
	s_lshr_b32 s2, s2, 16
	v_mad_u64_u32 v[0:1], null, s14, s3, v[2:3]
	v_mad_u64_u32 v[1:2], null, s15, s2, v[3:4]
	v_mov_b32_e32 v3, 0
	s_mov_b32 s2, exec_lo
	s_delay_alu instid0(VALU_DEP_3) | instskip(NEXT) | instid1(VALU_DEP_3)
	v_cvt_f32_i32_e32 v2, v0
	v_cvt_f32_i32_e32 v4, v1
	s_delay_alu instid0(VALU_DEP_2) | instskip(NEXT) | instid1(VALU_DEP_2)
	v_add_f32_e32 v2, 0xc3800000, v2
	v_add_f32_e32 v4, 0xc3800000, v4
	s_delay_alu instid0(VALU_DEP_2) | instskip(SKIP_1) | instid1(VALU_DEP_1)
	v_fmamk_f32 v5, v2, 0x4013cd3a, v3
	v_fmamk_f32 v2, v2, 0xbf93cd3a, v3
	v_dual_fmac_f32 v2, 2.0, v4 :: v_dual_fmamk_f32 v3, v4, 0x80000000, v5
	s_delay_alu instid0(VALU_DEP_1) | instskip(NEXT) | instid1(VALU_DEP_1)
	v_dual_add_f32 v2, 0x43800000, v2 :: v_dual_add_f32 v3, 0x43800000, v3
	v_floor_f32_e32 v6, v2
	s_delay_alu instid0(VALU_DEP_2) | instskip(NEXT) | instid1(VALU_DEP_1)
	v_floor_f32_e32 v4, v3
	v_cvt_i32_f32_e32 v5, v4
	s_delay_alu instid0(VALU_DEP_3) | instskip(NEXT) | instid1(VALU_DEP_2)
	v_cvt_i32_f32_e32 v4, v6
	v_cmp_gt_i32_e64 s7, 0, v5
	v_cmpx_lt_i32_e32 -1, v5
; %bb.1:
	s_delay_alu instid0(VALU_DEP_3) | instskip(NEXT) | instid1(VALU_DEP_3)
	v_max_u32_e32 v6, v5, v4
	s_and_not1_b32 s3, s7, exec_lo
	s_mov_b32 s6, exec_lo
	s_delay_alu instid0(VALU_DEP_1) | instskip(SKIP_1) | instid1(SALU_CYCLE_1)
	v_cmp_lt_u32_e32 vcc_lo, 0x1fe, v6
	s_and_b32 s7, vcc_lo, exec_lo
	s_or_b32 s7, s3, s7
; %bb.2:
	s_or_b32 exec_lo, exec_lo, s2
	s_load_b64 s[2:3], s[0:1], 0x8
                                        ; implicit-def: $vgpr6
	s_and_saveexec_b32 s0, s7
	s_delay_alu instid0(SALU_CYCLE_1)
	s_xor_b32 s1, exec_lo, s0
	s_cbranch_execz .LBB0_8
; %bb.3:
	v_cmp_eq_u32_e32 vcc_lo, 0x1ff, v5
	v_cmp_gt_u32_e64 s0, 0x200, v4
	s_delay_alu instid0(VALU_DEP_1) | instskip(NEXT) | instid1(SALU_CYCLE_1)
	s_and_b32 s7, vcc_lo, s0
                                        ; implicit-def: $sgpr0
	s_xor_b32 s9, s7, -1
	s_delay_alu instid0(SALU_CYCLE_1)
	s_and_saveexec_b32 s8, s9
; %bb.4:
	v_cmp_eq_u32_e32 vcc_lo, 0x1ff, v4
	v_cmp_gt_u32_e64 s0, 0x200, v5
	s_and_not1_b32 s7, s7, exec_lo
	s_delay_alu instid0(VALU_DEP_1) | instskip(NEXT) | instid1(SALU_CYCLE_1)
	s_and_b32 s0, vcc_lo, s0
	s_and_b32 s9, s0, exec_lo
	s_mov_b32 s0, 1
	s_or_b32 s7, s7, s9
; %bb.5:
	s_or_b32 exec_lo, exec_lo, s8
	v_mov_b32_e32 v6, s0
	s_and_saveexec_b32 s0, s7
	s_cbranch_execz .LBB0_7
; %bb.6:
	v_lshl_add_u32 v6, v4, 9, v5
	v_mov_b32_e32 v7, 0
	s_delay_alu instid0(VALU_DEP_1) | instskip(NEXT) | instid1(VALU_DEP_1)
	v_lshlrev_b64 v[6:7], 1, v[6:7]
	v_add_co_u32 v6, vcc_lo, s4, v6
	s_delay_alu instid0(VALU_DEP_2)
	v_add_co_ci_u32_e32 v7, vcc_lo, s5, v7, vcc_lo
	global_load_u16 v6, v[6:7], off
.LBB0_7:
	s_or_b32 exec_lo, exec_lo, s0
	s_delay_alu instid0(SALU_CYCLE_1)
	s_and_not1_b32 s6, s6, exec_lo
.LBB0_8:
	s_or_b32 exec_lo, exec_lo, s1
	s_and_saveexec_b32 s0, s6
	s_cbranch_execz .LBB0_10
; %bb.9:
	v_dual_mov_b32 v9, 0 :: v_dual_lshlrev_b32 v8, 9, v4
	v_cvt_f32_i32_e32 v4, v4
	s_waitcnt vmcnt(0)
	s_delay_alu instid0(VALU_DEP_2) | instskip(NEXT) | instid1(VALU_DEP_1)
	v_add_co_u32 v6, s1, v8, v5
	v_add_co_ci_u32_e64 v7, null, 0, 0, s1
	v_or_b32_e32 v8, v8, v5
	v_cvt_f32_i32_e32 v5, v5
	v_sub_f32_e32 v2, v2, v4
	s_delay_alu instid0(VALU_DEP_4) | instskip(NEXT) | instid1(VALU_DEP_4)
	v_lshlrev_b64 v[6:7], 1, v[6:7]
	v_lshlrev_b64 v[8:9], 1, v[8:9]
	s_delay_alu instid0(VALU_DEP_2) | instskip(NEXT) | instid1(VALU_DEP_3)
	v_add_co_u32 v6, vcc_lo, s4, v6
	v_add_co_ci_u32_e32 v7, vcc_lo, s5, v7, vcc_lo
	s_delay_alu instid0(VALU_DEP_3) | instskip(NEXT) | instid1(VALU_DEP_4)
	v_add_co_u32 v8, vcc_lo, s4, v8
	v_add_co_ci_u32_e32 v9, vcc_lo, s5, v9, vcc_lo
	s_clause 0x1
	global_load_b32 v6, v[6:7], off offset:1024
	global_load_b32 v7, v[8:9], off
	v_sub_f32_e32 v3, v3, v5
	s_waitcnt vmcnt(1)
	v_lshrrev_b32_e32 v8, 16, v6
	v_and_b32_e32 v6, 0xffff, v6
	s_waitcnt vmcnt(0)
	v_lshrrev_b32_e32 v5, 16, v7
	v_and_b32_e32 v7, 0xffff, v7
	v_cvt_f32_u32_e32 v8, v8
	v_sub_f32_e32 v9, 1.0, v3
	s_delay_alu instid0(VALU_DEP_4) | instskip(SKIP_3) | instid1(VALU_DEP_1)
	v_cvt_f32_u32_e32 v5, v5
	v_cvt_f32_u32_e32 v6, v6
	;; [unrolled: 1-line block ×3, first 2 shown]
	v_mul_f32_e32 v8, v3, v8
	v_dual_mul_f32 v3, v3, v5 :: v_dual_fmac_f32 v8, v9, v6
	v_sub_f32_e32 v5, 1.0, v2
	s_delay_alu instid0(VALU_DEP_2) | instskip(NEXT) | instid1(VALU_DEP_3)
	v_fmac_f32_e32 v3, v9, v4
	v_mul_f32_e32 v2, v2, v8
	s_delay_alu instid0(VALU_DEP_1) | instskip(NEXT) | instid1(VALU_DEP_1)
	v_fmac_f32_e32 v2, v5, v3
	v_cvt_u32_f32_e32 v6, v2
.LBB0_10:
	s_or_b32 exec_lo, exec_lo, s0
	v_lshl_add_u32 v0, v1, 9, v0
	s_delay_alu instid0(VALU_DEP_1) | instskip(NEXT) | instid1(VALU_DEP_1)
	v_ashrrev_i32_e32 v1, 31, v0
	v_lshlrev_b64 v[0:1], 1, v[0:1]
	s_waitcnt lgkmcnt(0)
	s_delay_alu instid0(VALU_DEP_1) | instskip(NEXT) | instid1(VALU_DEP_2)
	v_add_co_u32 v0, vcc_lo, s2, v0
	v_add_co_ci_u32_e32 v1, vcc_lo, s3, v1, vcc_lo
	s_waitcnt vmcnt(0)
	global_store_b16 v[0:1], v6, off
	s_nop 0
	s_sendmsg sendmsg(MSG_DEALLOC_VGPRS)
	s_endpgm
	.section	.rodata,"a",@progbits
	.p2align	6, 0x0
	.amdhsa_kernel _Z6affinePKtPt
		.amdhsa_group_segment_fixed_size 0
		.amdhsa_private_segment_fixed_size 0
		.amdhsa_kernarg_size 272
		.amdhsa_user_sgpr_count 14
		.amdhsa_user_sgpr_dispatch_ptr 0
		.amdhsa_user_sgpr_queue_ptr 0
		.amdhsa_user_sgpr_kernarg_segment_ptr 1
		.amdhsa_user_sgpr_dispatch_id 0
		.amdhsa_user_sgpr_private_segment_size 0
		.amdhsa_wavefront_size32 1
		.amdhsa_uses_dynamic_stack 0
		.amdhsa_enable_private_segment 0
		.amdhsa_system_sgpr_workgroup_id_x 1
		.amdhsa_system_sgpr_workgroup_id_y 1
		.amdhsa_system_sgpr_workgroup_id_z 0
		.amdhsa_system_sgpr_workgroup_info 0
		.amdhsa_system_vgpr_workitem_id 1
		.amdhsa_next_free_vgpr 10
		.amdhsa_next_free_sgpr 16
		.amdhsa_reserve_vcc 1
		.amdhsa_float_round_mode_32 0
		.amdhsa_float_round_mode_16_64 0
		.amdhsa_float_denorm_mode_32 3
		.amdhsa_float_denorm_mode_16_64 3
		.amdhsa_dx10_clamp 1
		.amdhsa_ieee_mode 1
		.amdhsa_fp16_overflow 0
		.amdhsa_workgroup_processor_mode 1
		.amdhsa_memory_ordered 1
		.amdhsa_forward_progress 0
		.amdhsa_shared_vgpr_count 0
		.amdhsa_exception_fp_ieee_invalid_op 0
		.amdhsa_exception_fp_denorm_src 0
		.amdhsa_exception_fp_ieee_div_zero 0
		.amdhsa_exception_fp_ieee_overflow 0
		.amdhsa_exception_fp_ieee_underflow 0
		.amdhsa_exception_fp_ieee_inexact 0
		.amdhsa_exception_int_div_zero 0
	.end_amdhsa_kernel
	.text
.Lfunc_end0:
	.size	_Z6affinePKtPt, .Lfunc_end0-_Z6affinePKtPt
                                        ; -- End function
	.section	.AMDGPU.csdata,"",@progbits
; Kernel info:
; codeLenInByte = 724
; NumSgprs: 18
; NumVgprs: 10
; ScratchSize: 0
; MemoryBound: 0
; FloatMode: 240
; IeeeMode: 1
; LDSByteSize: 0 bytes/workgroup (compile time only)
; SGPRBlocks: 2
; VGPRBlocks: 1
; NumSGPRsForWavesPerEU: 18
; NumVGPRsForWavesPerEU: 10
; Occupancy: 16
; WaveLimiterHint : 0
; COMPUTE_PGM_RSRC2:SCRATCH_EN: 0
; COMPUTE_PGM_RSRC2:USER_SGPR: 14
; COMPUTE_PGM_RSRC2:TRAP_HANDLER: 0
; COMPUTE_PGM_RSRC2:TGID_X_EN: 1
; COMPUTE_PGM_RSRC2:TGID_Y_EN: 1
; COMPUTE_PGM_RSRC2:TGID_Z_EN: 0
; COMPUTE_PGM_RSRC2:TIDIG_COMP_CNT: 1
	.text
	.p2alignl 7, 3214868480
	.fill 96, 4, 3214868480
	.type	__hip_cuid_c353ffb20b4f70c4,@object ; @__hip_cuid_c353ffb20b4f70c4
	.section	.bss,"aw",@nobits
	.globl	__hip_cuid_c353ffb20b4f70c4
__hip_cuid_c353ffb20b4f70c4:
	.byte	0                               ; 0x0
	.size	__hip_cuid_c353ffb20b4f70c4, 1

	.ident	"AMD clang version 19.0.0git (https://github.com/RadeonOpenCompute/llvm-project roc-6.4.0 25133 c7fe45cf4b819c5991fe208aaa96edf142730f1d)"
	.section	".note.GNU-stack","",@progbits
	.addrsig
	.addrsig_sym __hip_cuid_c353ffb20b4f70c4
	.amdgpu_metadata
---
amdhsa.kernels:
  - .args:
      - .actual_access:  read_only
        .address_space:  global
        .offset:         0
        .size:           8
        .value_kind:     global_buffer
      - .actual_access:  write_only
        .address_space:  global
        .offset:         8
        .size:           8
        .value_kind:     global_buffer
      - .offset:         16
        .size:           4
        .value_kind:     hidden_block_count_x
      - .offset:         20
        .size:           4
        .value_kind:     hidden_block_count_y
      - .offset:         24
        .size:           4
        .value_kind:     hidden_block_count_z
      - .offset:         28
        .size:           2
        .value_kind:     hidden_group_size_x
      - .offset:         30
        .size:           2
        .value_kind:     hidden_group_size_y
      - .offset:         32
        .size:           2
        .value_kind:     hidden_group_size_z
      - .offset:         34
        .size:           2
        .value_kind:     hidden_remainder_x
      - .offset:         36
        .size:           2
        .value_kind:     hidden_remainder_y
      - .offset:         38
        .size:           2
        .value_kind:     hidden_remainder_z
      - .offset:         56
        .size:           8
        .value_kind:     hidden_global_offset_x
      - .offset:         64
        .size:           8
        .value_kind:     hidden_global_offset_y
      - .offset:         72
        .size:           8
        .value_kind:     hidden_global_offset_z
      - .offset:         80
        .size:           2
        .value_kind:     hidden_grid_dims
    .group_segment_fixed_size: 0
    .kernarg_segment_align: 8
    .kernarg_segment_size: 272
    .language:       OpenCL C
    .language_version:
      - 2
      - 0
    .max_flat_workgroup_size: 1024
    .name:           _Z6affinePKtPt
    .private_segment_fixed_size: 0
    .sgpr_count:     18
    .sgpr_spill_count: 0
    .symbol:         _Z6affinePKtPt.kd
    .uniform_work_group_size: 1
    .uses_dynamic_stack: false
    .vgpr_count:     10
    .vgpr_spill_count: 0
    .wavefront_size: 32
    .workgroup_processor_mode: 1
amdhsa.target:   amdgcn-amd-amdhsa--gfx1100
amdhsa.version:
  - 1
  - 2
...

	.end_amdgpu_metadata
